;; amdgpu-corpus repo=ROCm/rocFFT kind=compiled arch=gfx950 opt=O3
	.text
	.amdgcn_target "amdgcn-amd-amdhsa--gfx950"
	.amdhsa_code_object_version 6
	.protected	fft_rtc_back_len390_factors_13_3_10_wgs_117_tpt_39_sp_op_CI_CI_unitstride_sbrr_R2C_dirReg ; -- Begin function fft_rtc_back_len390_factors_13_3_10_wgs_117_tpt_39_sp_op_CI_CI_unitstride_sbrr_R2C_dirReg
	.globl	fft_rtc_back_len390_factors_13_3_10_wgs_117_tpt_39_sp_op_CI_CI_unitstride_sbrr_R2C_dirReg
	.p2align	8
	.type	fft_rtc_back_len390_factors_13_3_10_wgs_117_tpt_39_sp_op_CI_CI_unitstride_sbrr_R2C_dirReg,@function
fft_rtc_back_len390_factors_13_3_10_wgs_117_tpt_39_sp_op_CI_CI_unitstride_sbrr_R2C_dirReg: ; @fft_rtc_back_len390_factors_13_3_10_wgs_117_tpt_39_sp_op_CI_CI_unitstride_sbrr_R2C_dirReg
; %bb.0:
	s_load_dwordx4 s[4:7], s[0:1], 0x58
	s_load_dwordx4 s[8:11], s[0:1], 0x0
	;; [unrolled: 1-line block ×3, first 2 shown]
	v_mul_u32_u24_e32 v1, 0x691, v0
	v_lshrrev_b32_e32 v2, 16, v1
	v_mad_u64_u32 v[4:5], s[2:3], s2, 3, v[2:3]
	v_mov_b32_e32 v6, 0
	v_mov_b32_e32 v5, v6
	s_waitcnt lgkmcnt(0)
	v_cmp_lt_u64_e64 s[2:3], s[10:11], 2
	v_mov_b64_e32 v[2:3], 0
	s_and_b64 vcc, exec, s[2:3]
	v_mov_b64_e32 v[24:25], v[2:3]
	v_mov_b64_e32 v[26:27], v[4:5]
	s_cbranch_vccnz .LBB0_8
; %bb.1:
	s_load_dwordx2 s[2:3], s[0:1], 0x10
	s_add_u32 s16, s14, 8
	s_addc_u32 s17, s15, 0
	s_add_u32 s18, s12, 8
	s_addc_u32 s19, s13, 0
	s_waitcnt lgkmcnt(0)
	s_add_u32 s20, s2, 8
	v_mov_b64_e32 v[2:3], 0
	s_addc_u32 s21, s3, 0
	s_mov_b64 s[22:23], 1
	v_mov_b64_e32 v[24:25], v[2:3]
	v_mov_b64_e32 v[8:9], v[4:5]
.LBB0_2:                                ; =>This Inner Loop Header: Depth=1
	s_load_dwordx2 s[24:25], s[20:21], 0x0
                                        ; implicit-def: $vgpr26_vgpr27
	s_waitcnt lgkmcnt(0)
	v_or_b32_e32 v7, s25, v9
	v_cmp_ne_u64_e32 vcc, 0, v[6:7]
	s_and_saveexec_b64 s[2:3], vcc
	s_xor_b64 s[26:27], exec, s[2:3]
	s_cbranch_execz .LBB0_4
; %bb.3:                                ;   in Loop: Header=BB0_2 Depth=1
	v_cvt_f32_u32_e32 v1, s24
	v_cvt_f32_u32_e32 v5, s25
	s_sub_u32 s2, 0, s24
	s_subb_u32 s3, 0, s25
	v_fmac_f32_e32 v1, 0x4f800000, v5
	v_rcp_f32_e32 v1, v1
	s_nop 0
	v_mul_f32_e32 v1, 0x5f7ffffc, v1
	v_mul_f32_e32 v5, 0x2f800000, v1
	v_trunc_f32_e32 v5, v5
	v_fmac_f32_e32 v1, 0xcf800000, v5
	v_cvt_u32_f32_e32 v5, v5
	v_cvt_u32_f32_e32 v1, v1
	v_mul_lo_u32 v7, s2, v5
	v_mul_hi_u32 v10, s2, v1
	v_mul_lo_u32 v11, s3, v1
	v_add_u32_e32 v7, v10, v7
	v_mul_lo_u32 v14, s2, v1
	v_add_u32_e32 v7, v7, v11
	v_mul_hi_u32 v10, v1, v14
	v_mul_hi_u32 v13, v1, v7
	v_mul_lo_u32 v12, v1, v7
	v_mov_b32_e32 v11, v6
	v_lshl_add_u64 v[10:11], v[10:11], 0, v[12:13]
	v_mul_hi_u32 v13, v5, v14
	v_mul_lo_u32 v14, v5, v14
	v_add_co_u32_e32 v10, vcc, v10, v14
	v_mul_hi_u32 v12, v5, v7
	s_nop 0
	v_addc_co_u32_e32 v10, vcc, v11, v13, vcc
	v_mov_b32_e32 v11, v6
	s_nop 0
	v_addc_co_u32_e32 v13, vcc, 0, v12, vcc
	v_mul_lo_u32 v12, v5, v7
	v_lshl_add_u64 v[10:11], v[10:11], 0, v[12:13]
	v_add_co_u32_e32 v1, vcc, v1, v10
	v_mul_hi_u32 v10, s2, v1
	s_nop 0
	v_addc_co_u32_e32 v5, vcc, v5, v11, vcc
	v_mul_lo_u32 v7, s2, v5
	v_add_u32_e32 v7, v10, v7
	v_mul_lo_u32 v10, s3, v1
	v_add_u32_e32 v7, v7, v10
	v_mul_lo_u32 v12, s2, v1
	v_mul_hi_u32 v15, v5, v12
	v_mul_lo_u32 v16, v5, v12
	v_mul_hi_u32 v11, v1, v7
	;; [unrolled: 2-line block ×3, first 2 shown]
	v_mov_b32_e32 v13, v6
	v_lshl_add_u64 v[10:11], v[12:13], 0, v[10:11]
	v_add_co_u32_e32 v10, vcc, v10, v16
	v_mul_hi_u32 v14, v5, v7
	s_nop 0
	v_addc_co_u32_e32 v10, vcc, v11, v15, vcc
	v_mul_lo_u32 v12, v5, v7
	s_nop 0
	v_addc_co_u32_e32 v13, vcc, 0, v14, vcc
	v_mov_b32_e32 v11, v6
	v_lshl_add_u64 v[10:11], v[10:11], 0, v[12:13]
	v_add_co_u32_e32 v1, vcc, v1, v10
	v_mul_hi_u32 v12, v8, v1
	s_nop 0
	v_addc_co_u32_e32 v5, vcc, v5, v11, vcc
	v_mad_u64_u32 v[10:11], s[2:3], v8, v5, 0
	v_mov_b32_e32 v13, v6
	v_lshl_add_u64 v[10:11], v[12:13], 0, v[10:11]
	v_mad_u64_u32 v[14:15], s[2:3], v9, v1, 0
	v_add_co_u32_e32 v1, vcc, v10, v14
	v_mad_u64_u32 v[12:13], s[2:3], v9, v5, 0
	s_nop 0
	v_addc_co_u32_e32 v10, vcc, v11, v15, vcc
	v_mov_b32_e32 v11, v6
	s_nop 0
	v_addc_co_u32_e32 v13, vcc, 0, v13, vcc
	v_lshl_add_u64 v[10:11], v[10:11], 0, v[12:13]
	v_mul_lo_u32 v1, s25, v10
	v_mul_lo_u32 v5, s24, v11
	v_mad_u64_u32 v[12:13], s[2:3], s24, v10, 0
	v_add3_u32 v1, v13, v5, v1
	v_sub_u32_e32 v5, v9, v1
	v_mov_b32_e32 v7, s25
	v_sub_co_u32_e32 v16, vcc, v8, v12
	v_lshl_add_u64 v[14:15], v[10:11], 0, 1
	s_nop 0
	v_subb_co_u32_e64 v5, s[2:3], v5, v7, vcc
	v_subrev_co_u32_e64 v7, s[2:3], s24, v16
	v_subb_co_u32_e32 v1, vcc, v9, v1, vcc
	s_nop 0
	v_subbrev_co_u32_e64 v5, s[2:3], 0, v5, s[2:3]
	v_cmp_le_u32_e64 s[2:3], s25, v5
	v_cmp_le_u32_e32 vcc, s25, v1
	s_nop 0
	v_cndmask_b32_e64 v12, 0, -1, s[2:3]
	v_cmp_le_u32_e64 s[2:3], s24, v7
	s_nop 1
	v_cndmask_b32_e64 v7, 0, -1, s[2:3]
	v_cmp_eq_u32_e64 s[2:3], s25, v5
	s_nop 1
	v_cndmask_b32_e64 v5, v12, v7, s[2:3]
	v_lshl_add_u64 v[12:13], v[10:11], 0, 2
	v_cmp_ne_u32_e64 s[2:3], 0, v5
	v_cndmask_b32_e64 v7, 0, -1, vcc
	v_cmp_le_u32_e32 vcc, s24, v16
	v_cndmask_b32_e64 v5, v15, v13, s[2:3]
	s_nop 0
	v_cndmask_b32_e64 v13, 0, -1, vcc
	v_cmp_eq_u32_e32 vcc, s25, v1
	s_nop 1
	v_cndmask_b32_e32 v1, v7, v13, vcc
	v_cmp_ne_u32_e32 vcc, 0, v1
	v_cndmask_b32_e64 v1, v14, v12, s[2:3]
	s_nop 0
	v_cndmask_b32_e32 v27, v11, v5, vcc
	v_cndmask_b32_e32 v26, v10, v1, vcc
.LBB0_4:                                ;   in Loop: Header=BB0_2 Depth=1
	s_andn2_saveexec_b64 s[2:3], s[26:27]
	s_cbranch_execz .LBB0_6
; %bb.5:                                ;   in Loop: Header=BB0_2 Depth=1
	v_cvt_f32_u32_e32 v1, s24
	s_sub_i32 s26, 0, s24
	v_mov_b32_e32 v27, v6
	v_rcp_iflag_f32_e32 v1, v1
	s_nop 0
	v_mul_f32_e32 v1, 0x4f7ffffe, v1
	v_cvt_u32_f32_e32 v1, v1
	v_mul_lo_u32 v5, s26, v1
	v_mul_hi_u32 v5, v1, v5
	v_add_u32_e32 v1, v1, v5
	v_mul_hi_u32 v1, v8, v1
	v_mul_lo_u32 v5, v1, s24
	v_sub_u32_e32 v5, v8, v5
	v_add_u32_e32 v7, 1, v1
	v_subrev_u32_e32 v10, s24, v5
	v_cmp_le_u32_e32 vcc, s24, v5
	s_nop 1
	v_cndmask_b32_e32 v5, v5, v10, vcc
	v_cndmask_b32_e32 v1, v1, v7, vcc
	v_add_u32_e32 v7, 1, v1
	v_cmp_le_u32_e32 vcc, s24, v5
	s_nop 1
	v_cndmask_b32_e32 v26, v1, v7, vcc
.LBB0_6:                                ;   in Loop: Header=BB0_2 Depth=1
	s_or_b64 exec, exec, s[2:3]
	v_mad_u64_u32 v[10:11], s[2:3], v26, s24, 0
	s_load_dwordx2 s[2:3], s[18:19], 0x0
	s_add_u32 s22, s22, 1
	v_mul_lo_u32 v1, v27, s24
	v_mul_lo_u32 v5, v26, s25
	s_load_dwordx2 s[24:25], s[16:17], 0x0
	s_addc_u32 s23, s23, 0
	v_add3_u32 v1, v11, v5, v1
	v_sub_co_u32_e32 v5, vcc, v8, v10
	s_add_u32 s16, s16, 8
	s_nop 0
	v_subb_co_u32_e32 v1, vcc, v9, v1, vcc
	s_addc_u32 s17, s17, 0
	s_waitcnt lgkmcnt(0)
	v_mul_lo_u32 v7, s2, v1
	v_mul_lo_u32 v8, s3, v5
	v_mad_u64_u32 v[2:3], s[2:3], s2, v5, v[2:3]
	s_add_u32 s18, s18, 8
	v_add3_u32 v3, v8, v3, v7
	s_addc_u32 s19, s19, 0
	v_mov_b64_e32 v[8:9], s[10:11]
	v_mul_lo_u32 v1, s24, v1
	v_mul_lo_u32 v7, s25, v5
	v_mad_u64_u32 v[24:25], s[2:3], s24, v5, v[24:25]
	s_add_u32 s20, s20, 8
	v_cmp_ge_u64_e32 vcc, s[22:23], v[8:9]
	v_add3_u32 v25, v7, v25, v1
	s_addc_u32 s21, s21, 0
	s_cbranch_vccnz .LBB0_8
; %bb.7:                                ;   in Loop: Header=BB0_2 Depth=1
	v_mov_b64_e32 v[8:9], v[26:27]
	s_branch .LBB0_2
.LBB0_8:
	s_load_dwordx2 s[0:1], s[0:1], 0x28
	s_lshl_b64 s[10:11], s[10:11], 3
	s_add_u32 s2, s14, s10
	s_mov_b32 s14, 0xaaaaaaab
	v_mul_hi_u32 v1, v4, s14
	v_lshrrev_b32_e32 v1, 1, v1
	v_lshl_add_u32 v1, v1, 1, v1
	s_addc_u32 s3, s15, s11
	v_sub_u32_e32 v1, v4, v1
	s_waitcnt lgkmcnt(0)
	v_cmp_gt_u64_e32 vcc, s[0:1], v[26:27]
	v_cmp_le_u64_e64 s[0:1], s[0:1], v[26:27]
                                        ; implicit-def: $vgpr28
	s_and_saveexec_b64 s[14:15], s[0:1]
	s_xor_b64 s[0:1], exec, s[14:15]
; %bb.9:
	s_mov_b32 s14, 0x6906907
	v_mul_hi_u32 v2, v0, s14
	v_mul_u32_u24_e32 v2, 39, v2
	v_sub_u32_e32 v28, v0, v2
                                        ; implicit-def: $vgpr0
                                        ; implicit-def: $vgpr2_vgpr3
; %bb.10:
	s_or_saveexec_b64 s[0:1], s[0:1]
	v_mul_u32_u24_e32 v1, 0x187, v1
	v_lshlrev_b32_e32 v149, 3, v1
	s_xor_b64 exec, exec, s[0:1]
	s_cbranch_execz .LBB0_12
; %bb.11:
	s_add_u32 s10, s12, s10
	s_addc_u32 s11, s13, s11
	s_load_dwordx2 s[10:11], s[10:11], 0x0
	s_mov_b32 s12, 0x6906907
	s_waitcnt lgkmcnt(0)
	v_mul_lo_u32 v1, s11, v26
	v_mul_lo_u32 v6, s10, v27
	v_mad_u64_u32 v[4:5], s[10:11], s10, v26, 0
	v_add3_u32 v5, v5, v6, v1
	v_mul_hi_u32 v1, v0, s12
	v_mul_u32_u24_e32 v1, 39, v1
	v_sub_u32_e32 v28, v0, v1
	v_lshl_add_u64 v[0:1], v[4:5], 3, s[4:5]
	v_lshl_add_u64 v[0:1], v[2:3], 3, v[0:1]
	v_lshlrev_b32_e32 v2, 3, v28
	v_mov_b32_e32 v3, 0
	v_lshl_add_u64 v[0:1], v[0:1], 0, v[2:3]
	global_load_dwordx2 v[4:5], v[0:1], off
	global_load_dwordx2 v[6:7], v[0:1], off offset:312
	global_load_dwordx2 v[8:9], v[0:1], off offset:624
	;; [unrolled: 1-line block ×9, first 2 shown]
	v_add3_u32 v0, 0, v149, v2
	v_add_u32_e32 v1, 0x400, v0
	v_add_u32_e32 v2, 0x800, v0
	s_waitcnt vmcnt(8)
	ds_write2_b64 v0, v[4:5], v[6:7] offset1:39
	s_waitcnt vmcnt(6)
	ds_write2_b64 v0, v[8:9], v[10:11] offset0:78 offset1:117
	s_waitcnt vmcnt(4)
	ds_write2_b64 v0, v[12:13], v[14:15] offset0:156 offset1:195
	;; [unrolled: 2-line block ×4, first 2 shown]
.LBB0_12:
	s_or_b64 exec, exec, s[0:1]
	v_lshlrev_b32_e32 v29, 3, v28
	v_add_u32_e32 v151, 0, v29
	v_add_u32_e32 v148, v151, v149
	;; [unrolled: 1-line block ×3, first 2 shown]
	s_waitcnt lgkmcnt(0)
	s_barrier
	ds_read2_b64 v[0:3], v150 offset0:74 offset1:104
	ds_read2_b64 v[12:15], v148 offset0:30 offset1:60
	v_add_u32_e32 v146, 0, v149
	ds_read2_b64 v[8:11], v148 offset0:90 offset1:120
	ds_read2_b64 v[4:7], v150 offset0:14 offset1:44
	v_add_u32_e32 v147, v146, v29
	s_mov_b32 s4, 0xbeb58ec6
	s_waitcnt lgkmcnt(2)
	v_pk_add_f32 v[46:47], v[2:3], v[12:13]
	v_pk_add_f32 v[48:49], v[12:13], v[2:3] neg_lo:[0,1] neg_hi:[0,1]
	ds_read_b64 v[36:37], v147
	s_mov_b32 s5, 0xbf6f5d39
	v_pk_add_f32 v[42:43], v[0:1], v[14:15]
	v_pk_add_f32 v[44:45], v[14:15], v[0:1] neg_lo:[0,1] neg_hi:[0,1]
	v_mov_b32_e32 v30, v49
	v_mov_b32_e32 v31, v47
	s_mov_b32 s18, s5
	s_mov_b32 s19, s4
	;; [unrolled: 1-line block ×3, first 2 shown]
	v_pk_mul_f32 v[54:55], v[30:31], s[18:19]
	v_mov_b32_e32 v74, v46
	v_mov_b32_e32 v75, v48
	;; [unrolled: 1-line block ×4, first 2 shown]
	s_mov_b32 s22, 0x3f29c268
	s_mov_b32 s23, s10
	;; [unrolled: 1-line block ×3, first 2 shown]
	s_waitcnt lgkmcnt(1)
	v_pk_add_f32 v[38:39], v[6:7], v[8:9]
	v_pk_add_f32 v[40:41], v[8:9], v[6:7] neg_lo:[0,1] neg_hi:[0,1]
	v_pk_fma_f32 v[16:17], v[74:75], s[4:5], v[54:55] neg_lo:[0,0,1] neg_hi:[0,0,1]
	v_pk_fma_f32 v[56:57], v[74:75], s[4:5], v[54:55]
	v_pk_mul_f32 v[58:59], v[32:33], s[22:23]
	v_mov_b32_e32 v76, v42
	v_mov_b32_e32 v77, v44
	s_mov_b32 s11, s22
	s_mov_b32 s15, 0x3eedf032
	v_mov_b32_e32 v17, v57
	v_pk_fma_f32 v[18:19], v[76:77], s[10:11], v[58:59] neg_lo:[0,0,1] neg_hi:[0,0,1]
	v_pk_fma_f32 v[60:61], v[76:77], s[10:11], v[58:59]
	v_mov_b32_e32 v34, v41
	v_mov_b32_e32 v35, v39
	s_mov_b32 s0, s15
	s_mov_b32 s1, s14
	;; [unrolled: 1-line block ×3, first 2 shown]
	s_waitcnt lgkmcnt(0)
	v_pk_add_f32 v[16:17], v[36:37], v[16:17]
	v_mov_b32_e32 v19, v61
	v_mov_b32_e32 v78, v38
	;; [unrolled: 1-line block ×3, first 2 shown]
	v_pk_mul_f32 v[62:63], v[34:35], s[0:1]
	v_pk_add_f32 v[50:51], v[4:5], v[10:11]
	v_pk_add_f32 v[52:53], v[10:11], v[4:5] neg_lo:[0,1] neg_hi:[0,1]
	s_mov_b32 s13, 0xbf7e222b
	v_pk_add_f32 v[16:17], v[18:19], v[16:17]
	v_pk_fma_f32 v[18:19], v[78:79], s[14:15], v[62:63] neg_lo:[0,0,1] neg_hi:[0,0,1]
	v_pk_fma_f32 v[64:65], v[78:79], s[14:15], v[62:63]
	v_mov_b32_e32 v82, v53
	v_mov_b32_e32 v83, v51
	s_mov_b32 s24, s13
	s_mov_b32 s25, s12
	;; [unrolled: 1-line block ×3, first 2 shown]
	v_mov_b32_e32 v19, v65
	v_mov_b32_e32 v80, v50
	;; [unrolled: 1-line block ×3, first 2 shown]
	v_pk_mul_f32 v[68:69], v[82:83], s[24:25]
	s_mov_b32 s17, 0xbf52af12
	v_pk_add_f32 v[16:17], v[18:19], v[16:17]
	v_pk_fma_f32 v[18:19], v[80:81], s[12:13], v[68:69] neg_lo:[0,0,1] neg_hi:[0,0,1]
	v_pk_fma_f32 v[70:71], v[80:81], s[12:13], v[68:69]
	s_mov_b32 s20, s17
	s_mov_b32 s21, s16
	v_mov_b32_e32 v19, v71
	v_pk_mul_f32 v[92:93], v[30:31], s[20:21]
	v_pk_mul_f32 v[90:91], v[32:33], s[18:19]
	s_mov_b32 s18, 0xbf788fa5
	v_pk_add_f32 v[86:87], v[18:19], v[16:17]
	v_pk_fma_f32 v[84:85], v[74:75], s[16:17], v[92:93]
	v_pk_fma_f32 v[16:17], v[74:75], s[16:17], v[92:93] neg_lo:[0,0,1] neg_hi:[0,0,1]
	s_mov_b32 s19, 0xbe750f2a
	v_mov_b32_e32 v17, v85
	v_pk_fma_f32 v[88:89], v[76:77], s[4:5], v[90:91]
	v_pk_fma_f32 v[18:19], v[76:77], s[4:5], v[90:91] neg_lo:[0,0,1] neg_hi:[0,0,1]
	s_mov_b32 s26, s19
	s_mov_b32 s27, s18
	v_mov_b32_e32 v19, v89
	v_pk_add_f32 v[16:17], v[36:37], v[16:17]
	v_pk_mul_f32 v[96:97], v[34:35], s[26:27]
	v_pk_add_f32 v[16:17], v[18:19], v[16:17]
	v_pk_fma_f32 v[94:95], v[78:79], s[18:19], v[96:97]
	v_pk_fma_f32 v[18:19], v[78:79], s[18:19], v[96:97] neg_lo:[0,0,1] neg_hi:[0,0,1]
	v_pk_mul_f32 v[98:99], v[82:83], s[22:23]
	v_mov_b32_e32 v19, v95
	v_pk_add_f32 v[66:67], v[18:19], v[16:17]
	ds_read2_b64 v[20:23], v148 offset0:150 offset1:180
	ds_read2_b64 v[16:19], v148 offset0:210 offset1:240
	v_pk_fma_f32 v[100:101], v[80:81], s[10:11], v[98:99]
	v_pk_fma_f32 v[72:73], v[80:81], s[10:11], v[98:99] neg_lo:[0,0,1] neg_hi:[0,0,1]
	s_mov_b32 s23, 0x3f7e222b
	v_mov_b32_e32 v73, v101
	v_pk_add_f32 v[102:103], v[72:73], v[66:67]
	s_waitcnt lgkmcnt(0)
	v_pk_add_f32 v[66:67], v[18:19], v[20:21]
	v_pk_add_f32 v[72:73], v[20:21], v[18:19] neg_lo:[0,1] neg_hi:[0,1]
	v_mov_b32_e32 v115, v67
	v_mov_b32_e32 v114, v73
	s_mov_b32 s28, s23
	s_mov_b32 s29, s12
	v_mov_b32_e32 v116, v66
	v_mov_b32_e32 v117, v72
	s_mov_b32 s22, s12
	v_pk_mul_f32 v[112:113], v[114:115], s[28:29]
	v_pk_mul_f32 v[108:109], v[32:33], s[26:27]
	v_pk_fma_f32 v[110:111], v[116:117], s[22:23], v[112:113]
	v_pk_fma_f32 v[104:105], v[116:117], s[22:23], v[112:113] neg_lo:[0,0,1] neg_hi:[0,0,1]
	v_pk_fma_f32 v[32:33], v[76:77], s[18:19], v[108:109] neg_lo:[0,0,1] neg_hi:[0,0,1]
	v_mov_b32_e32 v105, v111
	v_pk_add_f32 v[132:133], v[104:105], v[102:103]
	v_pk_mul_f32 v[104:105], v[30:31], s[24:25]
	v_pk_fma_f32 v[106:107], v[76:77], s[18:19], v[108:109]
	v_pk_fma_f32 v[30:31], v[74:75], s[12:13], v[104:105] neg_lo:[0,0,1] neg_hi:[0,0,1]
	v_pk_fma_f32 v[102:103], v[74:75], s[12:13], v[104:105]
	s_mov_b32 s24, 0x3f6f5d39
	v_mov_b32_e32 v31, v103
	s_mov_b32 s25, s4
	v_mov_b32_e32 v33, v107
	v_pk_add_f32 v[30:31], v[36:37], v[30:31]
	v_pk_mul_f32 v[120:121], v[34:35], s[24:25]
	s_mov_b32 s36, s4
	s_mov_b32 s37, s24
	v_pk_add_f32 v[30:31], v[32:33], v[30:31]
	v_pk_fma_f32 v[32:33], v[78:79], s[36:37], v[120:121] neg_lo:[0,0,1] neg_hi:[0,0,1]
	v_pk_fma_f32 v[122:123], v[78:79], s[36:37], v[120:121]
	v_pk_mul_f32 v[126:127], v[82:83], s[0:1]
	v_mov_b32_e32 v33, v123
	v_pk_add_f32 v[30:31], v[32:33], v[30:31]
	v_pk_fma_f32 v[32:33], v[80:81], s[14:15], v[126:127] neg_lo:[0,0,1] neg_hi:[0,0,1]
	v_pk_fma_f32 v[124:125], v[80:81], s[14:15], v[126:127]
	v_pk_mul_f32 v[130:131], v[114:115], s[20:21]
	v_mov_b32_e32 v33, v125
	s_mov_b32 s27, 0x3e750f2a
	v_pk_add_f32 v[30:31], v[32:33], v[30:31]
	v_pk_fma_f32 v[32:33], v[116:117], s[16:17], v[130:131] neg_lo:[0,0,1] neg_hi:[0,0,1]
	v_pk_fma_f32 v[128:129], v[116:117], s[16:17], v[130:131]
	s_mov_b32 s20, s27
	s_mov_b32 s21, s18
	v_mov_b32_e32 v33, v129
	v_pk_mul_f32 v[114:115], v[114:115], s[20:21]
	s_mov_b32 s26, s18
	v_pk_add_f32 v[32:33], v[32:33], v[30:31]
	v_pk_fma_f32 v[30:31], v[116:117], s[26:27], v[114:115] neg_lo:[0,0,1] neg_hi:[0,0,1]
	v_pk_fma_f32 v[118:119], v[116:117], s[26:27], v[114:115]
	v_pk_add_f32 v[82:83], v[16:17], v[22:23]
	v_mov_b32_e32 v31, v119
	v_pk_add_f32 v[34:35], v[30:31], v[86:87]
	v_pk_add_f32 v[86:87], v[22:23], v[16:17] neg_lo:[0,1] neg_hi:[0,1]
	v_mov_b32_e32 v135, v83
	v_mov_b32_e32 v134, v87
	v_mov_b32_e32 v144, v82
	v_mov_b32_e32 v145, v86
	v_pk_mul_f32 v[142:143], v[134:135], s[0:1]
	s_mov_b32 s39, 0xbf29c268
	v_pk_fma_f32 v[140:141], v[144:145], s[14:15], v[142:143]
	v_pk_fma_f32 v[30:31], v[144:145], s[14:15], v[142:143] neg_lo:[0,0,1] neg_hi:[0,0,1]
	s_mov_b32 s0, s39
	s_mov_b32 s1, s10
	v_mov_b32_e32 v31, v141
	s_mov_b32 s38, s10
	v_pk_mul_f32 v[138:139], v[134:135], s[0:1]
	v_pk_add_f32 v[30:31], v[30:31], v[132:133]
	v_pk_fma_f32 v[132:133], v[144:145], s[38:39], v[138:139] neg_lo:[0,0,1] neg_hi:[0,0,1]
	v_pk_fma_f32 v[136:137], v[144:145], s[38:39], v[138:139]
	s_mov_b32 s25, 0x3f52af12
	v_mov_b32_e32 v133, v137
	s_mov_b32 s0, s25
	s_mov_b32 s1, s16
	v_pk_add_f32 v[32:33], v[132:133], v[32:33]
	v_pk_mul_f32 v[132:133], v[134:135], s[0:1]
	s_mov_b32 s24, s16
	v_pk_fma_f32 v[152:153], v[144:145], s[24:25], v[132:133] neg_lo:[0,0,1] neg_hi:[0,0,1]
	v_pk_fma_f32 v[134:135], v[144:145], s[24:25], v[132:133]
	v_cmp_gt_u32_e64 s[0:1], 30, v28
	v_mov_b32_e32 v153, v135
	v_pk_add_f32 v[34:35], v[152:153], v[34:35]
	s_barrier
	s_and_saveexec_b64 s[20:21], s[0:1]
	s_cbranch_execz .LBB0_14
; %bb.13:
	v_pk_add_f32 v[12:13], v[36:37], v[12:13]
	s_mov_b32 s0, 0xbeedf032
	v_pk_add_f32 v[12:13], v[12:13], v[14:15]
	v_pk_mul_f32 v[166:167], v[48:49], s[0:1] op_sel_hi:[1,0]
	v_pk_add_f32 v[8:9], v[12:13], v[8:9]
	s_mov_b32 s34, s17
	v_pk_add_f32 v[8:9], v[8:9], v[10:11]
	v_pk_mul_f32 v[168:169], v[44:45], s[34:35] op_sel_hi:[1,0]
	v_pk_add_f32 v[8:9], v[8:9], v[20:21]
	s_mov_b32 s0, s13
	v_pk_add_f32 v[8:9], v[8:9], v[22:23]
	v_mul_u32_u24_e32 v10, 0x60, v28
	v_pk_add_f32 v[8:9], v[8:9], v[16:17]
	v_pk_mul_f32 v[14:15], v[40:41], s[0:1] op_sel_hi:[1,0]
	v_pk_add_f32 v[8:9], v[8:9], v[18:19]
	v_add3_u32 v151, v151, v10, v149
	v_pk_add_f32 v[4:5], v[8:9], v[4:5]
	s_mov_b32 s0, s5
	v_pk_add_f32 v[4:5], v[4:5], v[6:7]
	v_pk_fma_f32 v[6:7], v[42:43], s[16:17], v[168:169] op_sel:[0,0,1] op_sel_hi:[1,0,0] neg_lo:[0,0,1] neg_hi:[0,0,1]
	v_pk_add_f32 v[0:1], v[4:5], v[0:1]
	v_mov_b32_e32 v11, v7
	v_pk_add_f32 v[176:177], v[0:1], v[2:3]
	v_pk_fma_f32 v[0:1], v[46:47], s[14:15], v[166:167] op_sel:[0,0,1] op_sel_hi:[1,0,0]
	v_pk_fma_f32 v[2:3], v[46:47], s[14:15], v[166:167] op_sel:[0,0,1] op_sel_hi:[1,0,0] neg_lo:[0,0,1] neg_hi:[0,0,1]
	v_mov_b32_e32 v4, v0
	v_mov_b32_e32 v5, v3
	v_pk_add_f32 v[8:9], v[36:37], v[4:5]
	v_pk_fma_f32 v[4:5], v[42:43], s[16:17], v[168:169] op_sel:[0,0,1] op_sel_hi:[1,0,0]
	v_pk_mul_f32 v[170:171], v[52:53], s[0:1] op_sel_hi:[1,0]
	v_mov_b32_e32 v10, v4
	v_pk_add_f32 v[12:13], v[10:11], v[8:9]
	v_pk_fma_f32 v[8:9], v[38:39], s[12:13], v[14:15] op_sel:[0,0,1] op_sel_hi:[1,0,0]
	v_pk_fma_f32 v[10:11], v[38:39], s[12:13], v[14:15] op_sel:[0,0,1] op_sel_hi:[1,0,0] neg_lo:[0,0,1] neg_hi:[0,0,1]
	v_mov_b32_e32 v14, v8
	v_mov_b32_e32 v15, v11
	s_mov_b32 s28, s39
	v_pk_add_f32 v[16:17], v[14:15], v[12:13]
	v_pk_fma_f32 v[12:13], v[50:51], s[4:5], v[170:171] op_sel:[0,0,1] op_sel_hi:[1,0,0]
	v_pk_fma_f32 v[14:15], v[50:51], s[4:5], v[170:171] op_sel:[0,0,1] op_sel_hi:[1,0,0] neg_lo:[0,0,1] neg_hi:[0,0,1]
	v_pk_mul_f32 v[172:173], v[72:73], s[28:29] op_sel_hi:[1,0]
	v_mov_b32_e32 v18, v12
	v_mov_b32_e32 v19, v15
	v_pk_mul_f32 v[152:153], v[74:75], s[4:5]
	s_mov_b32 s30, s19
	v_pk_add_f32 v[20:21], v[18:19], v[16:17]
	v_pk_fma_f32 v[16:17], v[66:67], s[10:11], v[172:173] op_sel:[0,0,1] op_sel_hi:[1,0,0]
	v_pk_fma_f32 v[18:19], v[66:67], s[10:11], v[172:173] op_sel:[0,0,1] op_sel_hi:[1,0,0] neg_lo:[0,0,1] neg_hi:[0,0,1]
	v_pk_mul_f32 v[174:175], v[86:87], s[30:31] op_sel_hi:[1,0]
	v_mov_b32_e32 v22, v16
	v_mov_b32_e32 v23, v19
	v_pk_add_f32 v[54:55], v[54:55], v[152:153] neg_lo:[0,1] neg_hi:[0,1]
	v_pk_mul_f32 v[154:155], v[76:77], s[10:11]
	v_pk_add_f32 v[166:167], v[22:23], v[20:21]
	v_pk_fma_f32 v[20:21], v[82:83], s[18:19], v[174:175] op_sel:[0,0,1] op_sel_hi:[1,0,0]
	v_pk_fma_f32 v[22:23], v[82:83], s[18:19], v[174:175] op_sel:[0,0,1] op_sel_hi:[1,0,0] neg_lo:[0,0,1] neg_hi:[0,0,1]
	v_mov_b32_e32 v57, v55
	v_pk_mul_f32 v[156:157], v[78:79], s[14:15]
	v_mov_b32_e32 v168, v20
	v_mov_b32_e32 v169, v23
	v_pk_add_f32 v[54:55], v[36:37], v[56:57]
	v_pk_add_f32 v[56:57], v[58:59], v[154:155] neg_lo:[0,1] neg_hi:[0,1]
	v_pk_mul_f32 v[158:159], v[80:81], s[12:13]
	v_pk_mul_f32 v[160:161], v[74:75], s[16:17]
	v_pk_add_f32 v[166:167], v[168:169], v[166:167]
	v_mov_b32_e32 v61, v57
	v_pk_add_f32 v[56:57], v[62:63], v[156:157] neg_lo:[0,1] neg_hi:[0,1]
	v_pk_mul_f32 v[162:163], v[76:77], s[4:5]
	ds_write2_b64 v151, v[176:177], v[166:167] offset1:1
	v_pk_mul_f32 v[166:167], v[116:117], s[22:23]
	v_pk_mul_f32 v[74:75], v[74:75], s[12:13]
	v_pk_add_f32 v[92:93], v[92:93], v[160:161] neg_lo:[0,1] neg_hi:[0,1]
	v_pk_mul_f32 v[160:161], v[116:117], s[16:17]
	v_pk_mul_f32 v[116:117], v[116:117], s[26:27]
	v_mov_b32_e32 v65, v57
	v_pk_add_f32 v[56:57], v[68:69], v[158:159] neg_lo:[0,1] neg_hi:[0,1]
	v_pk_mul_f32 v[170:171], v[144:145], s[14:15]
	v_pk_mul_f32 v[76:77], v[76:77], s[18:19]
	v_mov_b32_e32 v85, v93
	v_pk_mul_f32 v[92:93], v[144:145], s[38:39]
	v_pk_mul_f32 v[144:145], v[144:145], s[24:25]
	v_pk_add_f32 v[90:91], v[90:91], v[162:163] neg_lo:[0,1] neg_hi:[0,1]
	v_pk_add_f32 v[74:75], v[104:105], v[74:75] neg_lo:[0,1] neg_hi:[0,1]
	v_mov_b32_e32 v71, v57
	v_pk_add_f32 v[56:57], v[114:115], v[116:117] neg_lo:[0,1] neg_hi:[0,1]
	v_pk_mul_f32 v[164:165], v[78:79], s[18:19]
	v_pk_mul_f32 v[78:79], v[78:79], s[36:37]
	v_pk_add_f32 v[84:85], v[36:37], v[84:85]
	v_mov_b32_e32 v89, v91
	v_mov_b32_e32 v103, v75
	v_pk_add_f32 v[76:77], v[108:109], v[76:77] neg_lo:[0,1] neg_hi:[0,1]
	v_mov_b32_e32 v119, v57
	v_pk_add_f32 v[56:57], v[132:133], v[144:145] neg_lo:[0,1] neg_hi:[0,1]
	v_pk_mul_f32 v[168:169], v[80:81], s[10:11]
	v_pk_mul_f32 v[80:81], v[80:81], s[14:15]
	v_pk_add_f32 v[84:85], v[88:89], v[84:85]
	v_pk_add_f32 v[88:89], v[96:97], v[164:165] neg_lo:[0,1] neg_hi:[0,1]
	v_pk_add_f32 v[74:75], v[36:37], v[102:103]
	v_mov_b32_e32 v107, v77
	v_pk_add_f32 v[76:77], v[120:121], v[78:79] neg_lo:[0,1] neg_hi:[0,1]
	v_mov_b32_e32 v135, v57
	v_pk_mul_f32 v[56:57], v[48:49], s[28:29] op_sel_hi:[1,0]
	s_mov_b32 s22, s23
	v_mov_b32_e32 v95, v89
	v_pk_add_f32 v[88:89], v[98:99], v[168:169] neg_lo:[0,1] neg_hi:[0,1]
	v_pk_add_f32 v[74:75], v[106:107], v[74:75]
	v_mov_b32_e32 v123, v77
	v_pk_add_f32 v[76:77], v[126:127], v[80:81] neg_lo:[0,1] neg_hi:[0,1]
	v_pk_add_f32 v[54:55], v[60:61], v[54:55]
	v_pk_fma_f32 v[58:59], v[46:47], s[10:11], v[56:57] op_sel:[0,0,1] op_sel_hi:[1,0,0]
	v_pk_fma_f32 v[56:57], v[46:47], s[10:11], v[56:57] op_sel:[0,0,1] op_sel_hi:[1,0,0] neg_lo:[0,0,1] neg_hi:[0,0,1]
	v_pk_mul_f32 v[62:63], v[44:45], s[22:23] op_sel_hi:[1,0]
	v_pk_add_f32 v[84:85], v[94:95], v[84:85]
	v_mov_b32_e32 v101, v89
	v_pk_add_f32 v[88:89], v[112:113], v[166:167] neg_lo:[0,1] neg_hi:[0,1]
	v_pk_add_f32 v[74:75], v[122:123], v[74:75]
	v_mov_b32_e32 v125, v77
	v_pk_add_f32 v[76:77], v[130:131], v[160:161] neg_lo:[0,1] neg_hi:[0,1]
	v_pk_add_f32 v[54:55], v[64:65], v[54:55]
	v_mov_b32_e32 v60, v58
	v_mov_b32_e32 v61, v57
	v_pk_fma_f32 v[64:65], v[42:43], s[12:13], v[62:63] op_sel:[0,0,1] op_sel_hi:[1,0,0]
	v_pk_fma_f32 v[62:63], v[42:43], s[12:13], v[62:63] op_sel:[0,0,1] op_sel_hi:[1,0,0] neg_lo:[0,0,1] neg_hi:[0,0,1]
	v_pk_add_f32 v[84:85], v[100:101], v[84:85]
	v_mov_b32_e32 v111, v89
	v_pk_add_f32 v[88:89], v[142:143], v[170:171] neg_lo:[0,1] neg_hi:[0,1]
	v_pk_add_f32 v[74:75], v[124:125], v[74:75]
	v_mov_b32_e32 v129, v77
	v_pk_add_f32 v[76:77], v[138:139], v[92:93] neg_lo:[0,1] neg_hi:[0,1]
	v_pk_add_f32 v[60:61], v[36:37], v[60:61]
	v_mov_b32_e32 v68, v64
	v_mov_b32_e32 v69, v63
	v_pk_add_f32 v[84:85], v[110:111], v[84:85]
	v_mov_b32_e32 v141, v89
	v_pk_add_f32 v[74:75], v[128:129], v[74:75]
	;; [unrolled: 2-line block ×3, first 2 shown]
	v_pk_mul_f32 v[68:69], v[40:41], s[34:35] op_sel_hi:[1,0]
	v_pk_add_f32 v[84:85], v[140:141], v[84:85]
	v_pk_add_f32 v[74:75], v[136:137], v[74:75]
	;; [unrolled: 1-line block ×3, first 2 shown]
	v_pk_fma_f32 v[70:71], v[38:39], s[16:17], v[68:69] op_sel:[0,0,1] op_sel_hi:[1,0,0]
	v_pk_fma_f32 v[68:69], v[38:39], s[16:17], v[68:69] op_sel:[0,0,1] op_sel_hi:[1,0,0] neg_lo:[0,0,1] neg_hi:[0,0,1]
	ds_write2_b64 v151, v[84:85], v[74:75] offset0:2 offset1:3
	v_mov_b32_e32 v74, v70
	v_mov_b32_e32 v75, v69
	s_mov_b32 s24, s27
	v_pk_add_f32 v[60:61], v[74:75], v[60:61]
	v_pk_mul_f32 v[74:75], v[52:53], s[24:25] op_sel_hi:[1,0]
	s_mov_b32 s24, s15
	v_pk_fma_f32 v[76:77], v[50:51], s[18:19], v[74:75] op_sel:[0,0,1] op_sel_hi:[1,0,0]
	v_pk_fma_f32 v[74:75], v[50:51], s[18:19], v[74:75] op_sel:[0,0,1] op_sel_hi:[1,0,0] neg_lo:[0,0,1] neg_hi:[0,0,1]
	v_mov_b32_e32 v78, v76
	v_mov_b32_e32 v79, v75
	v_pk_add_f32 v[60:61], v[78:79], v[60:61]
	v_pk_mul_f32 v[78:79], v[72:73], s[24:25] op_sel_hi:[1,0]
	v_pk_add_f32 v[54:55], v[118:119], v[54:55]
	v_pk_fma_f32 v[80:81], v[66:67], s[14:15], v[78:79] op_sel:[0,0,1] op_sel_hi:[1,0,0]
	v_pk_fma_f32 v[78:79], v[66:67], s[14:15], v[78:79] op_sel:[0,0,1] op_sel_hi:[1,0,0] neg_lo:[0,0,1] neg_hi:[0,0,1]
	v_mov_b32_e32 v84, v80
	v_mov_b32_e32 v85, v79
	v_pk_add_f32 v[60:61], v[84:85], v[60:61]
	v_pk_mul_f32 v[84:85], v[86:87], s[0:1] op_sel_hi:[1,0]
	v_pk_add_f32 v[54:55], v[134:135], v[54:55]
	v_pk_fma_f32 v[88:89], v[82:83], s[4:5], v[84:85] op_sel:[0,0,1] op_sel_hi:[1,0,0]
	v_pk_fma_f32 v[84:85], v[82:83], s[4:5], v[84:85] op_sel:[0,0,1] op_sel_hi:[1,0,0] neg_lo:[0,0,1] neg_hi:[0,0,1]
	v_mov_b32_e32 v90, v88
	v_mov_b32_e32 v91, v85
	v_pk_add_f32 v[60:61], v[90:91], v[60:61]
	v_pk_mul_f32 v[48:49], v[48:49], s[30:31] op_sel_hi:[1,0]
	ds_write2_b64 v151, v[54:55], v[60:61] offset0:4 offset1:5
	v_pk_fma_f32 v[54:55], v[46:47], s[18:19], v[48:49] op_sel:[0,0,1] op_sel_hi:[1,0,0]
	v_pk_fma_f32 v[46:47], v[46:47], s[18:19], v[48:49] op_sel:[0,0,1] op_sel_hi:[1,0,0] neg_lo:[0,0,1] neg_hi:[0,0,1]
	v_pk_mul_f32 v[44:45], v[44:45], s[24:25] op_sel_hi:[1,0]
	v_mov_b32_e32 v48, v54
	v_mov_b32_e32 v49, v47
	v_pk_fma_f32 v[60:61], v[42:43], s[14:15], v[44:45] op_sel:[0,0,1] op_sel_hi:[1,0,0]
	v_pk_fma_f32 v[42:43], v[42:43], s[14:15], v[44:45] op_sel:[0,0,1] op_sel_hi:[1,0,0] neg_lo:[0,0,1] neg_hi:[0,0,1]
	v_pk_add_f32 v[48:49], v[36:37], v[48:49]
	v_mov_b32_e32 v44, v60
	v_mov_b32_e32 v45, v43
	v_pk_mul_f32 v[40:41], v[40:41], s[28:29] op_sel_hi:[1,0]
	v_pk_add_f32 v[44:45], v[44:45], v[48:49]
	v_pk_fma_f32 v[48:49], v[38:39], s[10:11], v[40:41] op_sel:[0,0,1] op_sel_hi:[1,0,0]
	v_pk_fma_f32 v[38:39], v[38:39], s[10:11], v[40:41] op_sel:[0,0,1] op_sel_hi:[1,0,0] neg_lo:[0,0,1] neg_hi:[0,0,1]
	v_mov_b32_e32 v40, v48
	v_mov_b32_e32 v41, v39
	s_mov_b32 s10, s25
	v_pk_add_f32 v[40:41], v[40:41], v[44:45]
	v_pk_mul_f32 v[44:45], v[52:53], s[10:11] op_sel_hi:[1,0]
	v_mov_b32_e32 v47, v55
	v_pk_fma_f32 v[52:53], v[50:51], s[16:17], v[44:45] op_sel:[0,0,1] op_sel_hi:[1,0,0]
	v_pk_fma_f32 v[44:45], v[50:51], s[16:17], v[44:45] op_sel:[0,0,1] op_sel_hi:[1,0,0] neg_lo:[0,0,1] neg_hi:[0,0,1]
	v_mov_b32_e32 v50, v52
	v_mov_b32_e32 v51, v45
	v_pk_add_f32 v[40:41], v[50:51], v[40:41]
	v_pk_mul_f32 v[50:51], v[72:73], s[0:1] op_sel_hi:[1,0]
	v_pk_add_f32 v[46:47], v[36:37], v[46:47]
	v_pk_fma_f32 v[72:73], v[66:67], s[4:5], v[50:51] op_sel:[0,0,1] op_sel_hi:[1,0,0]
	v_pk_fma_f32 v[50:51], v[66:67], s[4:5], v[50:51] op_sel:[0,0,1] op_sel_hi:[1,0,0] neg_lo:[0,0,1] neg_hi:[0,0,1]
	v_mov_b32_e32 v43, v61
	v_mov_b32_e32 v66, v72
	;; [unrolled: 1-line block ×3, first 2 shown]
	v_pk_add_f32 v[42:43], v[42:43], v[46:47]
	v_mov_b32_e32 v39, v49
	v_pk_add_f32 v[40:41], v[66:67], v[40:41]
	v_pk_mul_f32 v[66:67], v[86:87], s[22:23] op_sel_hi:[1,0]
	v_pk_add_f32 v[38:39], v[38:39], v[42:43]
	v_mov_b32_e32 v45, v53
	v_pk_fma_f32 v[86:87], v[82:83], s[12:13], v[66:67] op_sel:[0,0,1] op_sel_hi:[1,0,0]
	v_pk_fma_f32 v[66:67], v[82:83], s[12:13], v[66:67] op_sel:[0,0,1] op_sel_hi:[1,0,0] neg_lo:[0,0,1] neg_hi:[0,0,1]
	v_pk_add_f32 v[38:39], v[44:45], v[38:39]
	v_mov_b32_e32 v51, v73
	v_mov_b32_e32 v82, v86
	;; [unrolled: 1-line block ×3, first 2 shown]
	v_pk_add_f32 v[38:39], v[50:51], v[38:39]
	v_mov_b32_e32 v67, v87
	v_pk_add_f32 v[40:41], v[82:83], v[40:41]
	v_pk_add_f32 v[38:39], v[66:67], v[38:39]
	v_mov_b32_e32 v57, v59
	v_mov_b32_e32 v3, v1
	ds_write2_b64 v151, v[40:41], v[38:39] offset0:6 offset1:7
	v_pk_add_f32 v[38:39], v[36:37], v[56:57]
	v_mov_b32_e32 v63, v65
	v_pk_add_f32 v[0:1], v[36:37], v[2:3]
	v_mov_b32_e32 v7, v5
	;; [unrolled: 2-line block ×10, first 2 shown]
	v_pk_add_f32 v[38:39], v[84:85], v[38:39]
	v_pk_add_f32 v[0:1], v[22:23], v[0:1]
	ds_write2_b64 v151, v[38:39], v[34:35] offset0:8 offset1:9
	ds_write2_b64 v151, v[32:33], v[30:31] offset0:10 offset1:11
	ds_write_b64 v151, v[0:1] offset:96
.LBB0_14:
	s_or_b64 exec, exec, s[20:21]
	v_add_u32_e32 v0, 0x400, v148
	s_waitcnt lgkmcnt(0)
	s_barrier
	ds_read_b64 v[16:17], v147
	ds_read2_b64 v[4:7], v148 offset0:130 offset1:169
	ds_read2_b64 v[8:11], v0 offset0:80 offset1:132
	;; [unrolled: 1-line block ×4, first 2 shown]
	v_cmp_gt_u32_e64 s[0:1], 13, v28
	s_and_saveexec_b64 s[4:5], s[0:1]
	s_cbranch_execz .LBB0_16
; %bb.15:
	ds_read2_b64 v[18:21], v148 offset0:117 offset1:247
	ds_read_b64 v[30:31], v148 offset:3016
	s_waitcnt lgkmcnt(1)
	v_mov_b32_e32 v33, v21
	v_mov_b32_e32 v32, v20
	v_mov_b64_e32 v[34:35], v[18:19]
.LBB0_16:
	s_or_b64 exec, exec, s[4:5]
	s_movk_i32 s5, 0x4f
	v_add_u16_e32 v19, 39, v28
	v_mul_lo_u16_sdwa v20, v19, s5 dst_sel:DWORD dst_unused:UNUSED_PAD src0_sel:BYTE_0 src1_sel:DWORD
	v_lshrrev_b16_e32 v46, 10, v20
	v_mul_lo_u16_e32 v20, 13, v46
	v_sub_u16_e32 v47, v19, v20
	v_add_u16_e32 v19, 0x4e, v28
	v_mul_lo_u16_sdwa v18, v28, s5 dst_sel:DWORD dst_unused:UNUSED_PAD src0_sel:BYTE_0 src1_sel:DWORD
	v_mul_lo_u16_sdwa v20, v19, s5 dst_sel:DWORD dst_unused:UNUSED_PAD src0_sel:BYTE_0 src1_sel:DWORD
	v_lshrrev_b16_e32 v44, 10, v18
	v_lshrrev_b16_e32 v48, 10, v20
	v_mul_lo_u16_e32 v18, 13, v44
	v_mul_lo_u16_e32 v20, 13, v48
	v_sub_u16_e32 v45, v28, v18
	v_mov_b32_e32 v18, 4
	v_sub_u16_e32 v49, v19, v20
	v_lshlrev_b32_sdwa v19, v18, v49 dst_sel:DWORD dst_unused:UNUSED_PAD src0_sel:DWORD src1_sel:BYTE_0
	global_load_dwordx4 v[20:23], v19, s[8:9]
	v_lshlrev_b32_sdwa v19, v18, v47 dst_sel:DWORD dst_unused:UNUSED_PAD src0_sel:DWORD src1_sel:BYTE_0
	global_load_dwordx4 v[36:39], v19, s[8:9]
	;; [unrolled: 2-line block ×3, first 2 shown]
	s_movk_i32 s10, 0x138
	v_mov_b32_e32 v19, 3
	v_mad_u32_u24 v44, v44, s10, 0
	v_mad_u32_u24 v46, v46, s10, 0
	;; [unrolled: 1-line block ×3, first 2 shown]
	v_lshlrev_b32_sdwa v45, v19, v45 dst_sel:DWORD dst_unused:UNUSED_PAD src0_sel:DWORD src1_sel:BYTE_0
	v_lshlrev_b32_sdwa v47, v19, v47 dst_sel:DWORD dst_unused:UNUSED_PAD src0_sel:DWORD src1_sel:BYTE_0
	;; [unrolled: 1-line block ×3, first 2 shown]
	v_add3_u32 v58, v44, v45, v149
	v_add3_u32 v59, v46, v47, v149
	;; [unrolled: 1-line block ×3, first 2 shown]
	s_mov_b32 s4, 0x3f5db3d7
	s_load_dwordx2 s[2:3], s[2:3], 0x0
	s_waitcnt lgkmcnt(0)
	s_barrier
	s_waitcnt vmcnt(2)
	v_pk_mul_f32 v[44:45], v[20:21], v[8:9] op_sel:[0,1]
	v_pk_mul_f32 v[46:47], v[22:23], v[14:15] op_sel:[0,1]
	s_waitcnt vmcnt(1)
	v_pk_mul_f32 v[48:49], v[36:37], v[6:7] op_sel:[0,1]
	v_pk_mul_f32 v[50:51], v[38:39], v[12:13] op_sel:[0,1]
	;; [unrolled: 3-line block ×3, first 2 shown]
	v_pk_fma_f32 v[56:57], v[20:21], v[8:9], v[44:45] op_sel:[0,0,1] op_sel_hi:[1,1,0]
	v_pk_fma_f32 v[8:9], v[20:21], v[8:9], v[44:45] op_sel:[0,0,1] op_sel_hi:[1,0,0] neg_lo:[1,0,0] neg_hi:[1,0,0]
	v_pk_fma_f32 v[20:21], v[22:23], v[14:15], v[46:47] op_sel:[0,0,1] op_sel_hi:[1,1,0]
	v_pk_fma_f32 v[14:15], v[22:23], v[14:15], v[46:47] op_sel:[0,0,1] op_sel_hi:[1,0,0] neg_lo:[1,0,0] neg_hi:[1,0,0]
	;; [unrolled: 2-line block ×6, first 2 shown]
	v_mov_b32_e32 v23, v7
	v_mov_b32_e32 v37, v13
	;; [unrolled: 1-line block ×6, first 2 shown]
	v_pk_add_f32 v[6:7], v[0:1], v[22:23]
	v_pk_add_f32 v[10:11], v[38:39], v[40:41]
	v_pk_add_f32 v[12:13], v[38:39], v[40:41] neg_lo:[0,1] neg_hi:[0,1]
	v_pk_add_f32 v[14:15], v[22:23], v[36:37]
	v_pk_add_f32 v[22:23], v[22:23], v[36:37] neg_lo:[0,1] neg_hi:[0,1]
	v_pk_add_f32 v[4:5], v[2:3], v[56:57]
	v_pk_fma_f32 v[10:11], v[10:11], 0.5, v[16:17] op_sel_hi:[1,0,1] neg_lo:[1,0,0] neg_hi:[1,0,0]
	v_pk_mul_f32 v[12:13], v[12:13], s[4:5] op_sel_hi:[1,0]
	v_pk_fma_f32 v[0:1], v[14:15], 0.5, v[0:1] op_sel_hi:[1,0,1] neg_lo:[1,0,0] neg_hi:[1,0,0]
	v_pk_mul_f32 v[14:15], v[22:23], s[4:5] op_sel_hi:[1,0]
	v_pk_add_f32 v[8:9], v[16:17], v[38:39]
	v_pk_add_f32 v[38:39], v[56:57], v[20:21]
	v_pk_add_f32 v[42:43], v[56:57], v[20:21] neg_lo:[0,1] neg_hi:[0,1]
	v_pk_add_f32 v[4:5], v[4:5], v[20:21]
	v_pk_add_f32 v[20:21], v[10:11], v[12:13] op_sel:[0,1] op_sel_hi:[1,0] neg_lo:[0,1] neg_hi:[0,1]
	v_pk_add_f32 v[10:11], v[10:11], v[12:13] op_sel:[0,1] op_sel_hi:[1,0]
	v_pk_add_f32 v[12:13], v[0:1], v[14:15] op_sel:[0,1] op_sel_hi:[1,0] neg_lo:[0,1] neg_hi:[0,1]
	v_pk_add_f32 v[0:1], v[0:1], v[14:15] op_sel:[0,1] op_sel_hi:[1,0]
	v_pk_add_f32 v[8:9], v[8:9], v[40:41]
	v_pk_fma_f32 v[2:3], v[38:39], 0.5, v[2:3] op_sel_hi:[1,0,1] neg_lo:[1,0,0] neg_hi:[1,0,0]
	v_pk_mul_f32 v[16:17], v[42:43], s[4:5] op_sel_hi:[1,0]
	v_mov_b32_e32 v14, v20
	v_mov_b32_e32 v15, v11
	;; [unrolled: 1-line block ×5, first 2 shown]
	v_pk_add_f32 v[6:7], v[6:7], v[36:37]
	v_mov_b32_e32 v20, v12
	ds_write2_b64 v58, v[8:9], v[14:15] offset1:13
	ds_write_b64 v58, v[10:11] offset:208
	ds_write2_b64 v59, v[6:7], v[20:21] offset1:13
	ds_write_b64 v59, v[0:1] offset:208
	v_pk_add_f32 v[0:1], v[2:3], v[16:17] op_sel:[0,1] op_sel_hi:[1,0] neg_lo:[0,1] neg_hi:[0,1]
	v_pk_add_f32 v[2:3], v[2:3], v[16:17] op_sel:[0,1] op_sel_hi:[1,0]
	v_mov_b32_e32 v6, v0
	v_mov_b32_e32 v7, v3
	;; [unrolled: 1-line block ×3, first 2 shown]
	ds_write2_b64 v60, v[4:5], v[6:7] offset1:13
	ds_write_b64 v60, v[2:3] offset:208
	s_and_saveexec_b64 s[10:11], s[0:1]
	s_cbranch_execz .LBB0_18
; %bb.17:
	v_add_u16_e32 v0, 0x75, v28
	v_mul_lo_u16_sdwa v1, v0, s5 dst_sel:DWORD dst_unused:UNUSED_PAD src0_sel:BYTE_0 src1_sel:DWORD
	v_lshrrev_b16_e32 v1, 10, v1
	v_mul_lo_u16_e32 v1, 13, v1
	v_sub_u16_e32 v5, v0, v1
	v_lshlrev_b32_sdwa v0, v18, v5 dst_sel:DWORD dst_unused:UNUSED_PAD src0_sel:DWORD src1_sel:BYTE_0
	global_load_dwordx4 v[0:3], v0, s[8:9]
	v_mov_b32_e32 v4, v33
	v_lshlrev_b32_sdwa v5, v19, v5 dst_sel:DWORD dst_unused:UNUSED_PAD src0_sel:DWORD src1_sel:BYTE_0
	v_add3_u32 v10, 0, v5, v149
	v_add_u32_e32 v11, 0x800, v10
	s_waitcnt vmcnt(0)
	v_pk_mul_f32 v[4:5], v[4:5], v[0:1] op_sel_hi:[0,1]
	v_pk_mul_f32 v[6:7], v[30:31], v[2:3] op_sel:[1,0]
	v_pk_fma_f32 v[8:9], v[32:33], v[0:1], v[4:5] op_sel:[0,0,1] op_sel_hi:[1,1,0]
	v_pk_fma_f32 v[0:1], v[32:33], v[0:1], v[4:5] op_sel:[0,0,1] op_sel_hi:[0,1,0] neg_lo:[1,0,0] neg_hi:[1,0,0]
	v_pk_fma_f32 v[4:5], v[30:31], v[2:3], v[6:7] op_sel:[0,0,1] op_sel_hi:[1,1,0]
	v_pk_fma_f32 v[2:3], v[30:31], v[2:3], v[6:7] op_sel:[0,0,1] op_sel_hi:[0,1,0] neg_lo:[1,0,0] neg_hi:[1,0,0]
	v_mov_b32_e32 v9, v1
	v_mov_b32_e32 v5, v3
	v_pk_add_f32 v[0:1], v[34:35], v[8:9]
	v_pk_add_f32 v[2:3], v[8:9], v[4:5]
	v_pk_add_f32 v[6:7], v[8:9], v[4:5] neg_lo:[0,1] neg_hi:[0,1]
	v_pk_add_f32 v[0:1], v[0:1], v[4:5]
	v_pk_fma_f32 v[2:3], -0.5, v[2:3], v[34:35] op_sel_hi:[0,1,1]
	v_pk_mul_f32 v[4:5], v[6:7], s[4:5] op_sel_hi:[1,0]
	s_nop 0
	v_pk_add_f32 v[6:7], v[2:3], v[4:5] op_sel:[0,1] op_sel_hi:[1,0] neg_lo:[0,1] neg_hi:[0,1]
	v_pk_add_f32 v[2:3], v[2:3], v[4:5] op_sel:[0,1] op_sel_hi:[1,0]
	v_mov_b32_e32 v4, v6
	v_mov_b32_e32 v5, v3
	;; [unrolled: 1-line block ×3, first 2 shown]
	ds_write2_b64 v11, v[0:1], v[4:5] offset0:95 offset1:108
	ds_write_b64 v10, v[2:3] offset:3016
.LBB0_18:
	s_or_b64 exec, exec, s[10:11]
	v_mul_u32_u24_e32 v0, 9, v28
	v_lshlrev_b32_e32 v16, 3, v0
	s_waitcnt lgkmcnt(0)
	s_barrier
	global_load_dwordx4 v[0:3], v16, s[8:9] offset:208
	global_load_dwordx4 v[4:7], v16, s[8:9] offset:224
	;; [unrolled: 1-line block ×4, first 2 shown]
	global_load_dwordx2 v[38:39], v16, s[8:9] offset:272
	v_add_u32_e32 v55, 0x800, v148
	ds_read2_b64 v[16:19], v148 offset0:39 offset1:78
	ds_read2_b64 v[20:23], v148 offset0:117 offset1:156
	;; [unrolled: 1-line block ×3, first 2 shown]
	ds_read_b64 v[40:41], v147
	ds_read_b64 v[42:43], v148 offset:2808
	ds_read2_b64 v[34:37], v55 offset0:17 offset1:56
	s_mov_b32 s0, 0x3e9e377a
	s_mov_b32 s1, 0x3f167918
	;; [unrolled: 1-line block ×8, first 2 shown]
	s_waitcnt lgkmcnt(0)
	s_barrier
	s_waitcnt vmcnt(4)
	v_pk_mul_f32 v[44:45], v[0:1], v[16:17] op_sel:[0,1]
	v_pk_mul_f32 v[46:47], v[2:3], v[18:19] op_sel:[0,1]
	s_waitcnt vmcnt(3)
	v_pk_mul_f32 v[48:49], v[4:5], v[20:21] op_sel:[0,1]
	v_pk_mul_f32 v[50:51], v[6:7], v[22:23] op_sel:[0,1]
	s_waitcnt vmcnt(2)
	v_pk_mul_f32 v[52:53], v[8:9], v[30:31] op_sel:[0,1]
	v_mov_b32_e32 v54, v11
	s_waitcnt vmcnt(1)
	v_pk_mul_f32 v[56:57], v[34:35], v[12:13] op_sel:[0,1]
	s_waitcnt vmcnt(0)
	v_pk_mul_f32 v[60:61], v[42:43], v[38:39] op_sel:[0,1]
	v_pk_fma_f32 v[62:63], v[0:1], v[16:17], v[44:45] op_sel:[0,0,1] op_sel_hi:[1,0,0]
	v_pk_fma_f32 v[0:1], v[0:1], v[16:17], v[44:45] op_sel:[0,0,1] op_sel_hi:[1,0,0] neg_lo:[1,0,0] neg_hi:[1,0,0]
	v_pk_fma_f32 v[16:17], v[2:3], v[18:19], v[46:47] op_sel:[0,0,1] op_sel_hi:[1,1,0]
	v_pk_fma_f32 v[2:3], v[2:3], v[18:19], v[46:47] op_sel:[0,0,1] op_sel_hi:[1,0,0] neg_lo:[1,0,0] neg_hi:[1,0,0]
	;; [unrolled: 2-line block ×5, first 2 shown]
	v_pk_mul_f32 v[30:31], v[32:33], v[54:55] op_sel_hi:[1,0]
	v_pk_fma_f32 v[44:45], v[34:35], v[12:13], v[56:57] op_sel:[0,0,1] op_sel_hi:[1,1,0]
	v_pk_fma_f32 v[46:47], v[42:43], v[38:39], v[60:61] op_sel:[0,0,1] op_sel_hi:[1,1,0]
	v_mov_b32_e32 v58, v15
	v_mov_b32_e32 v17, v3
	;; [unrolled: 1-line block ×3, first 2 shown]
	v_pk_fma_f32 v[2:3], v[32:33], v[10:11], v[30:31] op_sel:[0,0,1] op_sel_hi:[1,1,0]
	v_pk_fma_f32 v[6:7], v[32:33], v[10:11], v[30:31] op_sel:[0,0,1] op_sel_hi:[1,0,0] neg_lo:[0,0,1] neg_hi:[0,0,1]
	v_mov_b32_e32 v30, v18
	v_mov_b32_e32 v31, v46
	;; [unrolled: 1-line block ×4, first 2 shown]
	v_pk_fma_f32 v[12:13], v[34:35], v[12:13], v[56:57] op_sel:[0,0,1] op_sel_hi:[1,0,0] neg_lo:[0,0,1] neg_hi:[0,0,1]
	v_pk_mul_f32 v[34:35], v[36:37], v[58:59] op_sel_hi:[1,0]
	v_pk_fma_f32 v[38:39], v[42:43], v[38:39], v[60:61] op_sel:[0,0,1] op_sel_hi:[1,0,0] neg_lo:[0,0,1] neg_hi:[0,0,1]
	v_pk_add_f32 v[42:43], v[30:31], v[32:33] neg_lo:[0,1] neg_hi:[0,1]
	v_pk_add_f32 v[30:31], v[32:33], v[30:31] neg_lo:[0,1] neg_hi:[0,1]
	v_mov_b32_e32 v19, v5
	v_mov_b32_e32 v23, v9
	;; [unrolled: 1-line block ×3, first 2 shown]
	v_pk_fma_f32 v[10:11], v[36:37], v[14:15], v[34:35] op_sel:[0,0,1] op_sel_hi:[1,1,0]
	v_pk_fma_f32 v[14:15], v[36:37], v[14:15], v[34:35] op_sel:[0,0,1] op_sel_hi:[1,0,0] neg_lo:[0,0,1] neg_hi:[0,0,1]
	v_mov_b32_e32 v47, v39
	v_mov_b32_e32 v0, v43
	;; [unrolled: 1-line block ×5, first 2 shown]
	v_pk_add_f32 v[14:15], v[22:23], v[44:45]
	v_pk_add_f32 v[34:35], v[18:19], v[46:47] neg_lo:[0,1] neg_hi:[0,1]
	v_pk_add_f32 v[36:37], v[22:23], v[44:45] neg_lo:[0,1] neg_hi:[0,1]
	v_pk_add_f32 v[48:49], v[18:19], v[46:47]
	v_pk_add_f32 v[32:33], v[42:43], v[0:1]
	v_pk_add_f32 v[30:31], v[30:31], v[4:5]
	v_fma_f32 v8, -0.5, v14, v62
	v_fmac_f32_e32 v12, -0.5, v48
	v_mov_b32_e32 v33, v37
	v_mov_b32_e32 v31, v35
	v_fmamk_f32 v14, v35, 0xbf737871, v8
	v_fmac_f32_e32 v8, 0x3f737871, v35
	v_fmamk_f32 v0, v37, 0x3f737871, v12
	v_pk_mul_f32 v[32:33], v[32:33], s[0:1]
	v_pk_mul_f32 v[30:31], v[30:31], s[0:1]
	v_fmac_f32_e32 v12, 0xbf737871, v37
	v_mov_b32_e32 v63, v1
	v_sub_f32_e32 v4, v14, v33
	v_add_f32_e32 v8, v33, v8
	v_sub_f32_e32 v14, v0, v31
	v_add_f32_e32 v12, v31, v12
	v_add_f32_e32 v0, v32, v4
	;; [unrolled: 1-line block ×5, first 2 shown]
	v_pk_add_f32 v[18:19], v[62:63], v[18:19]
	v_mov_b32_e32 v38, v5
	v_mov_b32_e32 v12, v9
	v_pk_add_f32 v[18:19], v[18:19], v[22:23]
	v_fma_f32 v15, -0.5, v15, v1
	v_pk_add_f32 v[22:23], v[38:39], v[12:13] neg_lo:[0,1] neg_hi:[0,1]
	v_fmamk_f32 v31, v34, 0x3f737871, v15
	v_mov_b32_e32 v30, v23
	v_pk_add_f32 v[22:23], v[22:23], v[30:31]
	v_fmac_f32_e32 v15, 0xbf737871, v34
	v_mov_b32_e32 v23, v36
	v_pk_mul_f32 v[22:23], v[22:23], s[0:1]
	v_pk_add_f32 v[12:13], v[12:13], v[38:39] neg_lo:[0,1] neg_hi:[0,1]
	v_add_f32_e32 v5, v23, v31
	v_mov_b32_e32 v3, v7
	v_add_f32_e32 v30, v22, v5
	v_sub_f32_e32 v5, v15, v23
	v_fmac_f32_e32 v1, -0.5, v49
	v_mov_b32_e32 v32, v13
	v_add_f32_e32 v22, v22, v5
	v_fmamk_f32 v5, v36, 0xbf737871, v1
	v_pk_add_f32 v[12:13], v[12:13], v[32:33]
	v_fmac_f32_e32 v1, 0x3f737871, v36
	v_pk_add_f32 v[36:37], v[20:21], v[2:3]
	v_pk_add_f32 v[38:39], v[16:17], v[10:11] neg_lo:[0,1] neg_hi:[0,1]
	v_pk_add_f32 v[18:19], v[18:19], v[44:45]
	v_mov_b32_e32 v13, v34
	v_pk_fma_f32 v[36:37], v[36:37], 0.5, v[40:41] op_sel_hi:[1,0,1] neg_lo:[1,0,0] neg_hi:[1,0,0]
	v_pk_mul_f32 v[42:43], v[38:39], s[4:5] op_sel_hi:[1,0]
	v_pk_add_f32 v[44:45], v[20:21], v[2:3] neg_lo:[0,1] neg_hi:[0,1]
	v_pk_add_f32 v[48:49], v[16:17], v[20:21] neg_lo:[0,1] neg_hi:[0,1]
	;; [unrolled: 1-line block ×3, first 2 shown]
	v_pk_add_f32 v[6:7], v[40:41], v[16:17]
	v_pk_add_f32 v[18:19], v[18:19], v[46:47]
	v_pk_mul_f32 v[12:13], v[12:13], s[0:1]
	v_pk_mul_f32 v[46:47], v[44:45], s[10:11] op_sel_hi:[1,0]
	v_pk_add_f32 v[48:49], v[48:49], v[50:51]
	v_pk_add_f32 v[50:51], v[36:37], v[42:43] op_sel:[0,1] op_sel_hi:[1,0] neg_lo:[0,1] neg_hi:[0,1]
	v_pk_add_f32 v[36:37], v[36:37], v[42:43] op_sel:[0,1] op_sel_hi:[1,0]
	v_pk_add_f32 v[6:7], v[6:7], v[20:21]
	v_add_f32_e32 v5, v13, v5
	v_sub_f32_e32 v1, v1, v13
	v_pk_add_f32 v[36:37], v[36:37], v[46:47] op_sel:[0,1] op_sel_hi:[1,0]
	v_pk_add_f32 v[42:43], v[50:51], v[46:47] op_sel:[0,1] op_sel_hi:[1,0] neg_lo:[0,1] neg_hi:[0,1]
	v_pk_mul_f32 v[30:31], v[30:31], s[14:15] op_sel_hi:[0,1]
	v_pk_add_f32 v[6:7], v[6:7], v[2:3]
	v_add_f32_e32 v32, v12, v5
	v_add_f32_e32 v12, v12, v1
	v_mov_b32_e32 v46, v42
	v_mov_b32_e32 v47, v37
	v_pk_fma_f32 v[50:51], v[0:1], s[12:13], v[30:31] neg_lo:[0,0,1] neg_hi:[0,0,1]
	v_pk_fma_f32 v[0:1], v[0:1], s[12:13], v[30:31] op_sel_hi:[0,1,1]
	v_pk_add_f32 v[6:7], v[6:7], v[10:11]
	v_pk_fma_f32 v[46:47], v[48:49], s[0:1], v[46:47] op_sel_hi:[1,0,1]
	v_mov_b32_e32 v51, v1
	v_pk_add_f32 v[34:35], v[6:7], v[18:19]
	v_pk_add_f32 v[0:1], v[46:47], v[50:51]
	s_mov_b32 s5, s0
	ds_write2_b64 v148, v[34:35], v[0:1] offset1:39
	v_pk_add_f32 v[0:1], v[16:17], v[10:11]
	v_pk_add_f32 v[16:17], v[20:21], v[16:17] neg_lo:[0,1] neg_hi:[0,1]
	v_pk_add_f32 v[2:3], v[2:3], v[10:11] neg_lo:[0,1] neg_hi:[0,1]
	s_mov_b32 s12, s0
	s_mov_b32 s13, s4
	v_pk_mul_f32 v[10:11], v[32:33], s[4:5] op_sel_hi:[0,1]
	v_pk_add_f32 v[2:3], v[16:17], v[2:3]
	v_pk_fma_f32 v[16:17], v[8:9], s[12:13], v[10:11] neg_lo:[0,0,1] neg_hi:[0,0,1]
	v_pk_fma_f32 v[8:9], v[8:9], s[12:13], v[10:11] op_sel_hi:[0,1,1]
	v_pk_fma_f32 v[0:1], v[0:1], 0.5, v[40:41] op_sel_hi:[1,0,1] neg_lo:[1,0,0] neg_hi:[1,0,0]
	v_mov_b32_e32 v17, v9
	v_pk_mul_f32 v[8:9], v[44:45], s[4:5] op_sel_hi:[1,0]
	v_pk_mul_f32 v[10:11], v[38:39], s[10:11] op_sel_hi:[1,0]
	v_pk_add_f32 v[20:21], v[0:1], v[8:9] op_sel:[0,1] op_sel_hi:[1,0]
	v_pk_add_f32 v[0:1], v[0:1], v[8:9] op_sel:[0,1] op_sel_hi:[1,0] neg_lo:[0,1] neg_hi:[0,1]
	v_pk_add_f32 v[8:9], v[20:21], v[10:11] op_sel:[0,1] op_sel_hi:[1,0] neg_lo:[0,1] neg_hi:[0,1]
	v_pk_add_f32 v[0:1], v[0:1], v[10:11] op_sel:[0,1] op_sel_hi:[1,0]
	v_mov_b32_e32 v10, v8
	v_mov_b32_e32 v11, v1
	s_mov_b32 s10, 0xbe9e377a
	s_mov_b32 s11, s4
	v_pk_mul_f32 v[12:13], v[12:13], s[4:5] op_sel_hi:[0,1]
	v_mov_b32_e32 v1, v9
	v_pk_fma_f32 v[10:11], v[2:3], s[0:1], v[10:11] op_sel_hi:[1,0,1]
	v_pk_fma_f32 v[12:13], v[14:15], s[10:11], v[12:13] op_sel_hi:[0,1,1] neg_lo:[0,0,1] neg_hi:[0,0,1]
	v_pk_fma_f32 v[0:1], v[2:3], s[0:1], v[0:1] op_sel_hi:[1,0,1]
	v_pk_add_f32 v[20:21], v[10:11], v[16:17]
	v_pk_add_f32 v[2:3], v[0:1], v[12:13]
	ds_write2_b64 v148, v[20:21], v[2:3] offset0:78 offset1:117
	s_mov_b32 s4, 0xbf4f1bbd
	s_mov_b32 s5, s1
	v_pk_mul_f32 v[2:3], v[22:23], s[14:15] op_sel_hi:[0,1]
	v_mov_b32_e32 v37, v43
	v_pk_fma_f32 v[2:3], v[4:5], s[4:5], v[2:3] op_sel_hi:[0,1,1] neg_lo:[0,0,1] neg_hi:[0,0,1]
	v_pk_fma_f32 v[4:5], v[48:49], s[0:1], v[36:37] op_sel_hi:[1,0,1]
	v_pk_add_f32 v[6:7], v[6:7], v[18:19] neg_lo:[0,1] neg_hi:[0,1]
	v_pk_add_f32 v[8:9], v[4:5], v[2:3]
	ds_write2_b64 v148, v[8:9], v[6:7] offset0:156 offset1:195
	v_pk_add_f32 v[6:7], v[46:47], v[50:51] neg_lo:[0,1] neg_hi:[0,1]
	v_pk_add_f32 v[8:9], v[10:11], v[16:17] neg_lo:[0,1] neg_hi:[0,1]
	v_add_u32_e32 v10, 0x400, v148
	v_pk_add_f32 v[0:1], v[0:1], v[12:13] neg_lo:[0,1] neg_hi:[0,1]
	v_pk_add_f32 v[2:3], v[4:5], v[2:3] neg_lo:[0,1] neg_hi:[0,1]
	ds_write2_b64 v10, v[6:7], v[8:9] offset0:106 offset1:145
	ds_write2_b64 v55, v[0:1], v[2:3] offset0:56 offset1:95
	s_waitcnt lgkmcnt(0)
	s_barrier
	ds_read_b64 v[4:5], v147
	v_sub_u32_e32 v8, v146, v29
	v_cmp_ne_u32_e64 s[0:1], 0, v28
                                        ; implicit-def: $vgpr1
                                        ; implicit-def: $vgpr2_vgpr3
                                        ; implicit-def: $vgpr6_vgpr7
	s_and_saveexec_b64 s[4:5], s[0:1]
	s_xor_b64 s[0:1], exec, s[4:5]
	s_cbranch_execz .LBB0_20
; %bb.19:
	v_mov_b32_e32 v29, 0
	v_lshl_add_u64 v[0:1], v[28:29], 3, s[8:9]
	global_load_dwordx2 v[2:3], v[0:1], off offset:3016
	ds_read_b64 v[0:1], v8 offset:3120
	v_mov_b32_e32 v7, 0.5
	v_mov_b32_e32 v10, v7
	s_waitcnt lgkmcnt(0)
	v_pk_add_f32 v[12:13], v[0:1], v[4:5]
	v_pk_add_f32 v[0:1], v[4:5], v[0:1] neg_lo:[0,1] neg_hi:[0,1]
	v_mov_b32_e32 v4, v13
	v_mov_b32_e32 v5, v0
	v_pk_mul_f32 v[4:5], v[4:5], 0.5 op_sel_hi:[1,0]
	s_waitcnt vmcnt(0)
	v_mov_b32_e32 v6, v3
	v_mov_b32_e32 v0, v5
	;; [unrolled: 1-line block ×4, first 2 shown]
	v_pk_mul_f32 v[0:1], v[6:7], v[0:1]
	v_pk_mul_f32 v[14:15], v[2:3], v[4:5] op_sel_hi:[0,1]
	v_pk_fma_f32 v[6:7], v[12:13], v[10:11], v[0:1]
	v_pk_fma_f32 v[10:11], v[12:13], v[10:11], v[0:1] neg_lo:[0,0,1] neg_hi:[0,0,1]
	v_pk_fma_f32 v[0:1], v[2:3], v[4:5], v[6:7] op_sel_hi:[0,1,1] neg_lo:[1,0,0] neg_hi:[1,0,0]
	v_pk_fma_f32 v[2:3], v[2:3], v[4:5], v[10:11] op_sel_hi:[0,1,1] neg_lo:[1,0,0] neg_hi:[1,0,0]
	v_add_f32_e32 v0, v6, v14
	v_mov_b64_e32 v[6:7], v[28:29]
                                        ; implicit-def: $vgpr4_vgpr5
.LBB0_20:
	s_andn2_saveexec_b64 s[0:1], s[0:1]
	s_cbranch_execz .LBB0_22
; %bb.21:
	ds_read_b32 v1, v146 offset:1564
	s_waitcnt lgkmcnt(1)
	v_mov_b32_e32 v2, v5
	v_pk_add_f32 v[2:3], v[4:5], v[2:3] neg_lo:[0,1] neg_hi:[0,1]
	v_add_f32_e32 v0, v5, v4
	v_mov_b32_e32 v3, 0
	s_waitcnt lgkmcnt(0)
	v_xor_b32_e32 v1, 0x80000000, v1
	ds_write_b32 v146, v1 offset:1564
	v_mov_b64_e32 v[6:7], 0
	v_mov_b32_e32 v1, v3
.LBB0_22:
	s_or_b64 exec, exec, s[0:1]
	s_add_u32 s0, s8, 0xbc8
	s_addc_u32 s1, s9, 0
	s_waitcnt lgkmcnt(0)
	v_lshl_add_u64 v[4:5], v[6:7], 3, s[0:1]
	global_load_dwordx2 v[6:7], v[4:5], off offset:312
	global_load_dwordx2 v[10:11], v[4:5], off offset:624
	;; [unrolled: 1-line block ×4, first 2 shown]
	ds_write_b64 v147, v[0:1]
	ds_write_b64 v8, v[2:3] offset:3120
	ds_read_b64 v[0:1], v147 offset:312
	ds_read_b64 v[2:3], v8 offset:2808
	v_mov_b32_e32 v5, 0.5
	v_mov_b32_e32 v16, v5
	s_waitcnt lgkmcnt(0)
	v_pk_add_f32 v[18:19], v[0:1], v[2:3]
	v_pk_add_f32 v[0:1], v[0:1], v[2:3] neg_lo:[0,1] neg_hi:[0,1]
	v_mov_b32_e32 v2, v19
	v_mov_b32_e32 v3, v0
	v_pk_mul_f32 v[2:3], v[2:3], 0.5 op_sel_hi:[1,0]
	s_waitcnt vmcnt(3)
	v_mov_b32_e32 v17, v7
	v_mov_b32_e32 v19, v2
	;; [unrolled: 1-line block ×4, first 2 shown]
	v_pk_mul_f32 v[16:17], v[18:19], v[16:17]
	s_nop 0
	v_pk_fma_f32 v[18:19], v[4:5], v[0:1], v[16:17] neg_lo:[1,0,0] neg_hi:[1,0,0]
	v_pk_fma_f32 v[0:1], v[4:5], v[0:1], v[16:17]
	v_pk_fma_f32 v[16:17], v[6:7], v[2:3], v[18:19] op_sel_hi:[0,1,1] neg_lo:[1,0,0] neg_hi:[1,0,0]
	v_pk_fma_f32 v[18:19], v[6:7], v[2:3], v[0:1] op_sel_hi:[0,1,1]
	v_pk_fma_f32 v[0:1], v[6:7], v[2:3], v[0:1] op_sel_hi:[0,1,1] neg_lo:[1,0,0] neg_hi:[1,0,0]
	v_mov_b32_e32 v19, v1
	ds_write_b64 v147, v[18:19] offset:312
	ds_write_b64 v8, v[16:17] offset:2808
	ds_read_b64 v[0:1], v147 offset:624
	ds_read_b64 v[2:3], v8 offset:2496
	v_mov_b32_e32 v6, v5
	s_waitcnt vmcnt(2)
	v_mov_b32_e32 v7, v11
	v_mov_b32_e32 v4, v11
	s_waitcnt lgkmcnt(0)
	v_pk_add_f32 v[16:17], v[0:1], v[2:3]
	v_pk_add_f32 v[0:1], v[0:1], v[2:3] neg_lo:[0,1] neg_hi:[0,1]
	v_mov_b32_e32 v2, v17
	v_mov_b32_e32 v3, v0
	v_pk_mul_f32 v[2:3], v[2:3], 0.5 op_sel_hi:[1,0]
	s_nop 0
	v_mov_b32_e32 v17, v2
	v_mov_b32_e32 v0, v3
	v_pk_mul_f32 v[6:7], v[16:17], v[6:7]
	s_nop 0
	v_pk_fma_f32 v[16:17], v[4:5], v[0:1], v[6:7] neg_lo:[1,0,0] neg_hi:[1,0,0]
	v_pk_fma_f32 v[0:1], v[4:5], v[0:1], v[6:7]
	v_pk_fma_f32 v[6:7], v[10:11], v[2:3], v[16:17] op_sel_hi:[0,1,1] neg_lo:[1,0,0] neg_hi:[1,0,0]
	v_pk_fma_f32 v[16:17], v[10:11], v[2:3], v[0:1] op_sel_hi:[0,1,1]
	v_pk_fma_f32 v[0:1], v[10:11], v[2:3], v[0:1] op_sel_hi:[0,1,1] neg_lo:[1,0,0] neg_hi:[1,0,0]
	v_mov_b32_e32 v17, v1
	ds_write_b64 v147, v[16:17] offset:624
	ds_write_b64 v8, v[6:7] offset:2496
	ds_read_b64 v[0:1], v147 offset:936
	ds_read_b64 v[2:3], v8 offset:2184
	v_mov_b32_e32 v6, v5
	s_waitcnt vmcnt(1)
	v_mov_b32_e32 v7, v13
	v_mov_b32_e32 v4, v13
	s_waitcnt lgkmcnt(0)
	v_pk_add_f32 v[10:11], v[0:1], v[2:3]
	v_pk_add_f32 v[0:1], v[0:1], v[2:3] neg_lo:[0,1] neg_hi:[0,1]
	v_mov_b32_e32 v2, v11
	v_mov_b32_e32 v3, v0
	v_pk_mul_f32 v[2:3], v[2:3], 0.5 op_sel_hi:[1,0]
	s_nop 0
	v_mov_b32_e32 v11, v2
	v_mov_b32_e32 v0, v3
	;; [unrolled: 25-line block ×3, first 2 shown]
	v_pk_mul_f32 v[6:7], v[10:11], v[6:7]
	s_nop 0
	v_pk_fma_f32 v[10:11], v[4:5], v[0:1], v[6:7] neg_lo:[1,0,0] neg_hi:[1,0,0]
	v_pk_fma_f32 v[0:1], v[4:5], v[0:1], v[6:7]
	v_pk_fma_f32 v[4:5], v[14:15], v[2:3], v[10:11] op_sel_hi:[0,1,1] neg_lo:[1,0,0] neg_hi:[1,0,0]
	v_pk_fma_f32 v[6:7], v[14:15], v[2:3], v[0:1] op_sel_hi:[0,1,1]
	v_pk_fma_f32 v[0:1], v[14:15], v[2:3], v[0:1] op_sel_hi:[0,1,1] neg_lo:[1,0,0] neg_hi:[1,0,0]
	v_mov_b32_e32 v7, v1
	ds_write_b64 v147, v[6:7] offset:1248
	ds_write_b64 v8, v[4:5] offset:1872
	s_waitcnt lgkmcnt(0)
	s_barrier
	s_and_saveexec_b64 s[0:1], vcc
	s_cbranch_execz .LBB0_25
; %bb.23:
	v_mul_lo_u32 v2, s3, v26
	v_mul_lo_u32 v3, s2, v27
	v_mad_u64_u32 v[0:1], s[0:1], s2, v26, 0
	v_add3_u32 v1, v1, v3, v2
	v_lshl_add_u32 v2, v28, 3, v146
	ds_read2_b64 v[4:7], v2 offset1:39
	v_lshl_add_u64 v[0:1], v[0:1], 3, s[6:7]
	v_mov_b32_e32 v29, 0
	v_lshl_add_u64 v[0:1], v[24:25], 3, v[0:1]
	v_lshl_add_u64 v[8:9], v[28:29], 3, v[0:1]
	s_waitcnt lgkmcnt(0)
	global_store_dwordx2 v[8:9], v[4:5], off
	ds_read2_b64 v[8:11], v2 offset0:78 offset1:117
	v_add_u32_e32 v4, 39, v28
	v_mov_b32_e32 v5, v29
	v_lshl_add_u64 v[4:5], v[4:5], 3, v[0:1]
	global_store_dwordx2 v[4:5], v[6:7], off
	v_add_u32_e32 v4, 0x4e, v28
	v_mov_b32_e32 v5, v29
	v_lshl_add_u64 v[4:5], v[4:5], 3, v[0:1]
	s_waitcnt lgkmcnt(0)
	global_store_dwordx2 v[4:5], v[8:9], off
	v_add_u32_e32 v4, 0x75, v28
	v_mov_b32_e32 v5, v29
	v_lshl_add_u64 v[8:9], v[4:5], 3, v[0:1]
	ds_read2_b64 v[4:7], v2 offset0:156 offset1:195
	global_store_dwordx2 v[8:9], v[10:11], off
	v_add_u32_e32 v8, 0x9c, v28
	v_mov_b32_e32 v9, v29
	v_lshl_add_u64 v[8:9], v[8:9], 3, v[0:1]
	v_add_u32_e32 v3, 0x400, v2
	s_waitcnt lgkmcnt(0)
	global_store_dwordx2 v[8:9], v[4:5], off
	ds_read2_b64 v[8:11], v3 offset0:106 offset1:145
	v_add_u32_e32 v4, 0xc3, v28
	v_mov_b32_e32 v5, v29
	v_lshl_add_u64 v[4:5], v[4:5], 3, v[0:1]
	global_store_dwordx2 v[4:5], v[6:7], off
	v_add_u32_e32 v4, 0xea, v28
	v_mov_b32_e32 v5, v29
	v_lshl_add_u64 v[4:5], v[4:5], 3, v[0:1]
	s_waitcnt lgkmcnt(0)
	global_store_dwordx2 v[4:5], v[8:9], off
	v_add_u32_e32 v4, 0x111, v28
	v_mov_b32_e32 v5, v29
	v_add_u32_e32 v3, 0x800, v2
	v_lshl_add_u64 v[8:9], v[4:5], 3, v[0:1]
	ds_read2_b64 v[4:7], v3 offset0:56 offset1:95
	global_store_dwordx2 v[8:9], v[10:11], off
	v_add_u32_e32 v8, 0x138, v28
	v_mov_b32_e32 v9, v29
	v_lshl_add_u64 v[8:9], v[8:9], 3, v[0:1]
	s_waitcnt lgkmcnt(0)
	global_store_dwordx2 v[8:9], v[4:5], off
	v_add_u32_e32 v4, 0x15f, v28
	v_mov_b32_e32 v5, v29
	v_lshl_add_u64 v[4:5], v[4:5], 3, v[0:1]
	v_cmp_eq_u32_e32 vcc, 38, v28
	global_store_dwordx2 v[4:5], v[6:7], off
	s_and_b64 exec, exec, vcc
	s_cbranch_execz .LBB0_25
; %bb.24:
	ds_read_b64 v[2:3], v2 offset:2816
	s_waitcnt lgkmcnt(0)
	global_store_dwordx2 v[0:1], v[2:3], off offset:3120
.LBB0_25:
	s_endpgm
	.section	.rodata,"a",@progbits
	.p2align	6, 0x0
	.amdhsa_kernel fft_rtc_back_len390_factors_13_3_10_wgs_117_tpt_39_sp_op_CI_CI_unitstride_sbrr_R2C_dirReg
		.amdhsa_group_segment_fixed_size 0
		.amdhsa_private_segment_fixed_size 0
		.amdhsa_kernarg_size 104
		.amdhsa_user_sgpr_count 2
		.amdhsa_user_sgpr_dispatch_ptr 0
		.amdhsa_user_sgpr_queue_ptr 0
		.amdhsa_user_sgpr_kernarg_segment_ptr 1
		.amdhsa_user_sgpr_dispatch_id 0
		.amdhsa_user_sgpr_kernarg_preload_length 0
		.amdhsa_user_sgpr_kernarg_preload_offset 0
		.amdhsa_user_sgpr_private_segment_size 0
		.amdhsa_uses_dynamic_stack 0
		.amdhsa_enable_private_segment 0
		.amdhsa_system_sgpr_workgroup_id_x 1
		.amdhsa_system_sgpr_workgroup_id_y 0
		.amdhsa_system_sgpr_workgroup_id_z 0
		.amdhsa_system_sgpr_workgroup_info 0
		.amdhsa_system_vgpr_workitem_id 0
		.amdhsa_next_free_vgpr 178
		.amdhsa_next_free_sgpr 40
		.amdhsa_accum_offset 180
		.amdhsa_reserve_vcc 1
		.amdhsa_float_round_mode_32 0
		.amdhsa_float_round_mode_16_64 0
		.amdhsa_float_denorm_mode_32 3
		.amdhsa_float_denorm_mode_16_64 3
		.amdhsa_dx10_clamp 1
		.amdhsa_ieee_mode 1
		.amdhsa_fp16_overflow 0
		.amdhsa_tg_split 0
		.amdhsa_exception_fp_ieee_invalid_op 0
		.amdhsa_exception_fp_denorm_src 0
		.amdhsa_exception_fp_ieee_div_zero 0
		.amdhsa_exception_fp_ieee_overflow 0
		.amdhsa_exception_fp_ieee_underflow 0
		.amdhsa_exception_fp_ieee_inexact 0
		.amdhsa_exception_int_div_zero 0
	.end_amdhsa_kernel
	.text
.Lfunc_end0:
	.size	fft_rtc_back_len390_factors_13_3_10_wgs_117_tpt_39_sp_op_CI_CI_unitstride_sbrr_R2C_dirReg, .Lfunc_end0-fft_rtc_back_len390_factors_13_3_10_wgs_117_tpt_39_sp_op_CI_CI_unitstride_sbrr_R2C_dirReg
                                        ; -- End function
	.section	.AMDGPU.csdata,"",@progbits
; Kernel info:
; codeLenInByte = 8204
; NumSgprs: 46
; NumVgprs: 178
; NumAgprs: 0
; TotalNumVgprs: 178
; ScratchSize: 0
; MemoryBound: 0
; FloatMode: 240
; IeeeMode: 1
; LDSByteSize: 0 bytes/workgroup (compile time only)
; SGPRBlocks: 5
; VGPRBlocks: 22
; NumSGPRsForWavesPerEU: 46
; NumVGPRsForWavesPerEU: 178
; AccumOffset: 180
; Occupancy: 2
; WaveLimiterHint : 1
; COMPUTE_PGM_RSRC2:SCRATCH_EN: 0
; COMPUTE_PGM_RSRC2:USER_SGPR: 2
; COMPUTE_PGM_RSRC2:TRAP_HANDLER: 0
; COMPUTE_PGM_RSRC2:TGID_X_EN: 1
; COMPUTE_PGM_RSRC2:TGID_Y_EN: 0
; COMPUTE_PGM_RSRC2:TGID_Z_EN: 0
; COMPUTE_PGM_RSRC2:TIDIG_COMP_CNT: 0
; COMPUTE_PGM_RSRC3_GFX90A:ACCUM_OFFSET: 44
; COMPUTE_PGM_RSRC3_GFX90A:TG_SPLIT: 0
	.text
	.p2alignl 6, 3212836864
	.fill 256, 4, 3212836864
	.type	__hip_cuid_e8e453dfa9a3b727,@object ; @__hip_cuid_e8e453dfa9a3b727
	.section	.bss,"aw",@nobits
	.globl	__hip_cuid_e8e453dfa9a3b727
__hip_cuid_e8e453dfa9a3b727:
	.byte	0                               ; 0x0
	.size	__hip_cuid_e8e453dfa9a3b727, 1

	.ident	"AMD clang version 19.0.0git (https://github.com/RadeonOpenCompute/llvm-project roc-6.4.0 25133 c7fe45cf4b819c5991fe208aaa96edf142730f1d)"
	.section	".note.GNU-stack","",@progbits
	.addrsig
	.addrsig_sym __hip_cuid_e8e453dfa9a3b727
	.amdgpu_metadata
---
amdhsa.kernels:
  - .agpr_count:     0
    .args:
      - .actual_access:  read_only
        .address_space:  global
        .offset:         0
        .size:           8
        .value_kind:     global_buffer
      - .offset:         8
        .size:           8
        .value_kind:     by_value
      - .actual_access:  read_only
        .address_space:  global
        .offset:         16
        .size:           8
        .value_kind:     global_buffer
      - .actual_access:  read_only
        .address_space:  global
        .offset:         24
        .size:           8
        .value_kind:     global_buffer
      - .actual_access:  read_only
        .address_space:  global
        .offset:         32
        .size:           8
        .value_kind:     global_buffer
      - .offset:         40
        .size:           8
        .value_kind:     by_value
      - .actual_access:  read_only
        .address_space:  global
        .offset:         48
        .size:           8
        .value_kind:     global_buffer
      - .actual_access:  read_only
        .address_space:  global
        .offset:         56
        .size:           8
        .value_kind:     global_buffer
      - .offset:         64
        .size:           4
        .value_kind:     by_value
      - .actual_access:  read_only
        .address_space:  global
        .offset:         72
        .size:           8
        .value_kind:     global_buffer
      - .actual_access:  read_only
        .address_space:  global
        .offset:         80
        .size:           8
        .value_kind:     global_buffer
      - .actual_access:  read_only
        .address_space:  global
        .offset:         88
        .size:           8
        .value_kind:     global_buffer
      - .actual_access:  write_only
        .address_space:  global
        .offset:         96
        .size:           8
        .value_kind:     global_buffer
    .group_segment_fixed_size: 0
    .kernarg_segment_align: 8
    .kernarg_segment_size: 104
    .language:       OpenCL C
    .language_version:
      - 2
      - 0
    .max_flat_workgroup_size: 117
    .name:           fft_rtc_back_len390_factors_13_3_10_wgs_117_tpt_39_sp_op_CI_CI_unitstride_sbrr_R2C_dirReg
    .private_segment_fixed_size: 0
    .sgpr_count:     46
    .sgpr_spill_count: 0
    .symbol:         fft_rtc_back_len390_factors_13_3_10_wgs_117_tpt_39_sp_op_CI_CI_unitstride_sbrr_R2C_dirReg.kd
    .uniform_work_group_size: 1
    .uses_dynamic_stack: false
    .vgpr_count:     178
    .vgpr_spill_count: 0
    .wavefront_size: 64
amdhsa.target:   amdgcn-amd-amdhsa--gfx950
amdhsa.version:
  - 1
  - 2
...

	.end_amdgpu_metadata
